;; amdgpu-corpus repo=zjin-lcf/HeCBench kind=compiled arch=gfx1250 opt=O3
	.amdgcn_target "amdgcn-amd-amdhsa--gfx1250"
	.amdhsa_code_object_version 6
	.text
	.protected	_Z14block_matchingPKhPtPj15HIP_vector_typeIjLj2EES4_6ParamsS4_ ; -- Begin function _Z14block_matchingPKhPtPj15HIP_vector_typeIjLj2EES4_6ParamsS4_
	.globl	_Z14block_matchingPKhPtPj15HIP_vector_typeIjLj2EES4_6ParamsS4_
	.p2align	8
	.type	_Z14block_matchingPKhPtPj15HIP_vector_typeIjLj2EES4_6ParamsS4_,@function
_Z14block_matchingPKhPtPj15HIP_vector_typeIjLj2EES4_6ParamsS4_: ; @_Z14block_matchingPKhPtPj15HIP_vector_typeIjLj2EES4_6ParamsS4_
; %bb.0:
	s_clause 0x4
	s_load_b64 s[16:17], s[0:1], 0x38
	s_load_b32 s3, s[0:1], 0x30
	s_load_b128 s[8:11], s[0:1], 0x20
	s_load_b32 s4, s[0:1], 0x5c
	s_load_b96 s[12:14], s[0:1], 0x48
	s_bfe_u32 s6, ttmp6, 0x40010
	s_bfe_u32 s7, ttmp6, 0x40004
	s_add_co_i32 s6, s6, 1
	v_mov_b32_e32 v2, 0
	s_mul_i32 s6, ttmp7, s6
	s_delay_alu instid0(SALU_CYCLE_1)
	s_add_co_i32 s7, s7, s6
	s_wait_kmcnt 0x0
	s_mul_i32 s2, s17, 31
	s_lshl_b32 s5, s3, 5
	s_add_co_i32 s21, s2, s11
	s_bfe_u32 s15, s4, 0xb0005
	s_add_co_i32 s2, s21, s5
	s_getreg_b32 s5, hwreg(HW_REG_IB_STS2, 6, 4)
	s_mul_i32 s18, s15, s2
	s_delay_alu instid0(SALU_CYCLE_1) | instskip(NEXT) | instid1(SALU_CYCLE_1)
	s_lshl_b32 s18, s18, 2
	s_add_co_i32 s24, s18, 0
	s_cmp_eq_u32 s5, 0
	v_add_nc_u32_e32 v1, s24, v0
	s_cselect_b32 s20, ttmp7, s7
	s_delay_alu instid0(SALU_CYCLE_1) | instskip(NEXT) | instid1(SALU_CYCLE_1)
	s_mul_i32 s6, s17, s20
	s_add_co_i32 s22, s13, s6
	ds_store_b8 v1, v2
	s_cmp_lt_u32 s22, s9
	s_cselect_b32 s6, -1, 0
	s_delay_alu instid0(SALU_CYCLE_1)
	s_and_b32 vcc_lo, exec_lo, s6
	s_cbranch_vccnz .LBB0_2
; %bb.1:
	s_add_co_i32 s7, s9, -1
	s_delay_alu instid0(SALU_CYCLE_1) | instskip(NEXT) | instid1(SALU_CYCLE_1)
	s_add_co_i32 s6, s7, s17
	s_cmp_lt_u32 s22, s6
	s_mov_b32 s22, s7
	s_cselect_b32 s6, -1, 0
.LBB0_2:
	s_delay_alu instid0(SALU_CYCLE_1)
	s_and_not1_b32 vcc_lo, exec_lo, s6
	s_cbranch_vccnz .LBB0_81
; %bb.3:
	s_bfe_u32 s6, ttmp6, 0x4000c
	s_and_b32 s7, ttmp6, 15
	s_add_co_i32 s6, s6, 1
	s_and_b32 s13, s4, 0xffff
	s_mul_i32 s6, ttmp9, s6
	s_load_b64 s[18:19], s[0:1], 0x0
	s_add_co_i32 s7, s7, s6
	s_cmp_eq_u32 s5, 0
	s_cselect_b32 s4, ttmp9, s7
	s_delay_alu instid0(SALU_CYCLE_1) | instskip(NEXT) | instid1(SALU_CYCLE_1)
	s_lshl_b32 s23, s4, 5
	s_mul_i32 s4, s17, s23
	s_delay_alu instid0(SALU_CYCLE_1) | instskip(SKIP_2) | instid1(VALU_DEP_1)
	s_add_co_i32 s12, s12, s4
	v_and_b32_e32 v4, 31, v0
	s_mov_b32 s4, exec_lo
	v_mul_lo_u32 v6, s17, v4
	s_delay_alu instid0(VALU_DEP_1) | instskip(NEXT) | instid1(VALU_DEP_1)
	v_add_nc_u32_e32 v5, s12, v6
	v_cmpx_le_u32_e64 s8, v5
; %bb.4:
	s_add_co_i32 s5, s8, -1
	s_delay_alu instid0(SALU_CYCLE_1) | instskip(SKIP_2) | instid1(VALU_DEP_2)
	s_add_co_i32 s6, s5, s17
	v_sub_nc_u32_e32 v2, s5, v5
	v_cmp_gt_u32_e32 vcc_lo, s6, v5
	v_cndmask_b32_e32 v2, 0, v2, vcc_lo
	v_cndmask_b32_e64 v5, v5, s5, vcc_lo
	s_delay_alu instid0(VALU_DEP_2)
	v_add_nc_u32_e32 v6, v2, v6
; %bb.5:
	s_or_b32 exec_lo, exec_lo, s4
	s_clause 0x1
	s_load_b128 s[4:7], s[0:1], 0x8
	s_load_b32 s17, s[0:1], 0x18
	s_wait_xcnt 0x0
	s_and_b32 s0, s13, 0xffe0
	s_mul_i32 s25, s21, s11
	s_add_co_i32 s24, s24, s0
	s_mov_b32 s26, exec_lo
	v_cmpx_gt_u32_e64 s25, v0
	s_cbranch_execz .LBB0_10
; %bb.6:
	s_cvt_f32_u32 s0, s21
	s_sub_co_i32 s27, 0, s21
	v_mov_b32_e32 v3, 0
	s_delay_alu instid0(SALU_CYCLE_1) | instskip(SKIP_1) | instid1(TRANS32_DEP_1)
	v_rcp_iflag_f32_e32 v2, s0
	v_nop
	v_readfirstlane_b32 s0, v2
	v_mov_b32_e32 v2, v0
	s_mul_f32 s0, s0, 0x4f7ffffe
	s_delay_alu instid0(SALU_CYCLE_3) | instskip(NEXT) | instid1(SALU_CYCLE_3)
	s_cvt_u32_f32 s0, s0
	s_mul_i32 s1, s27, s0
	s_delay_alu instid0(SALU_CYCLE_1)
	s_mul_hi_u32 s28, s0, s1
	s_mov_b32 s1, 0
	s_add_co_i32 s0, s0, s28
	s_mov_b32 s28, s1
	s_branch .LBB0_8
.LBB0_7:                                ;   in Loop: Header=BB0_8 Depth=1
	s_or_b32 exec_lo, exec_lo, s29
	v_add_nc_u32_e32 v2, s13, v2
	s_delay_alu instid0(VALU_DEP_1) | instskip(SKIP_1) | instid1(SALU_CYCLE_1)
	v_cmp_le_u32_e32 vcc_lo, s25, v2
	s_or_b32 s28, vcc_lo, s28
	s_and_not1_b32 exec_lo, exec_lo, s28
	s_cbranch_execz .LBB0_10
.LBB0_8:                                ; =>This Inner Loop Header: Depth=1
	v_mul_u64_e32 v[8:9], s[0:1], v[2:3]
	s_mov_b32 s29, exec_lo
	s_delay_alu instid0(VALU_DEP_1) | instskip(SKIP_1) | instid1(VALU_DEP_2)
	v_not_b32_e32 v7, v9
	v_mad_u32 v8, s27, v9, v2
	v_mad_u32 v7, s21, v7, v2
	s_delay_alu instid0(VALU_DEP_2) | instskip(NEXT) | instid1(VALU_DEP_2)
	v_cmp_le_u32_e32 vcc_lo, s21, v8
	v_dual_cndmask_b32 v7, v8, v7 :: v_dual_add_nc_u32 v10, 1, v9
	s_delay_alu instid0(VALU_DEP_1) | instskip(NEXT) | instid1(VALU_DEP_2)
	v_cndmask_b32_e32 v9, v9, v10, vcc_lo
	v_cmp_le_u32_e32 vcc_lo, s21, v7
	s_delay_alu instid0(VALU_DEP_2) | instskip(NEXT) | instid1(VALU_DEP_1)
	v_dual_add_nc_u32 v8, 1, v9 :: v_dual_add_nc_u32 v7, s12, v2
	v_cndmask_b32_e32 v8, v9, v8, vcc_lo
	s_delay_alu instid0(VALU_DEP_1) | instskip(SKIP_1) | instid1(VALU_DEP_1)
	v_mad_u32 v9, s27, v8, v7
	s_wait_kmcnt 0x0
	v_cmpx_gt_u32_e64 s17, v9
	s_cbranch_execz .LBB0_7
; %bb.9:                                ;   in Loop: Header=BB0_8 Depth=1
	v_add_nc_u32_e32 v9, s22, v8
	v_mul_lo_u32 v8, v8, s21
	s_delay_alu instid0(VALU_DEP_2) | instskip(NEXT) | instid1(VALU_DEP_1)
	v_mul_lo_u32 v9, v9, s17
	v_sub_nc_u32_e32 v8, v9, v8
	s_delay_alu instid0(VALU_DEP_1)
	v_dual_add_nc_u32 v7, v7, v8 :: v_dual_add_nc_u32 v8, s24, v2
	global_load_u8 v7, v7, s[18:19]
	s_wait_loadcnt 0x0
	ds_store_b8 v8, v7
	s_branch .LBB0_7
.LBB0_10:
	s_or_b32 exec_lo, exec_lo, s26
	s_sub_co_i32 s0, 0, s22
	s_sub_co_i32 s29, 0, s10
	s_cmp_lt_i32 s22, s10
	s_mul_i32 s25, s15, s21
	s_cselect_b32 s26, s0, s29
	v_cmp_gt_u32_e64 s0, s8, v5
	s_cmp_gt_i32 s26, s10
	s_mov_b32 s27, 0
	s_wait_dscnt 0x0
	s_barrier_signal -1
	s_barrier_wait -1
	s_cbranch_scc1 .LBB0_65
; %bb.11:
	v_lshrrev_b32_e32 v8, 5, v0
	s_clz_i32_u32 s1, s16
	v_dual_add_nc_u32 v2, s12, v4 :: v_dual_lshlrev_b32 v13, 2, v6
	s_min_u32 s1, s1, 32
	s_delay_alu instid0(VALU_DEP_2)
	v_mul_lo_u32 v3, s21, v8
	v_mul_lo_u32 v9, s3, v0
	s_sub_co_i32 s28, 16, s1
	v_cmp_gt_u32_e32 vcc_lo, s21, v4
	s_cmp_gt_u32 s16, 0xffff
	s_wait_kmcnt 0x0
	v_cmp_gt_u32_e64 s1, s17, v2
	s_cselect_b32 s28, s28, 0
	s_sub_co_i32 s30, 0, s12
	s_cmp_lt_i32 s12, s10
	s_cselect_b32 s30, s30, s29
	v_lshlrev_b32_e32 v12, 2, v3
	s_lshl_b32 s39, s25, 2
	s_and_b32 s29, vcc_lo, s1
	s_cmp_lg_u32 s11, 0
	s_delay_alu instid0(VALU_DEP_1)
	v_dual_lshlrev_b32 v9, 2, v9 :: v_dual_add_nc_u32 v3, 0, v12
	v_add_nc_u32_e32 v2, s30, v8
	s_cselect_b32 s30, -1, 0
	s_cmp_gt_u32 s3, 1
	v_add3_u32 v12, v12, v13, 0
	s_cselect_b32 s31, -1, 0
	s_max_i32 s40, s22, s10
	s_max_i32 s41, s10, s12
	s_lshl_b32 s42, s10, 1
	s_add_co_i32 s38, s40, s41
	s_cmp_eq_u32 s11, 1
	v_add3_u32 v10, s38, v8, v4
	s_cselect_b32 s33, -1, 0
	s_cmp_lg_u32 s11, 1
	v_add3_u32 v11, s41, v8, v4
	s_cselect_b32 s34, -1, 0
	s_cmp_lg_u32 s17, 1
	v_add3_u32 v8, 0, s39, v9
	s_cselect_b32 s35, -1, 0
	s_and_b32 s36, s11, -2
	s_sub_co_i32 s37, 0, s11
	s_cmp_lg_u32 s11, s36
	v_subrev_nc_u32_e32 v9, s42, v10
	s_cselect_b32 s38, -1, 0
	s_lshl_b32 s2, s2, 2
	v_add_nc_u32_e32 v7, v3, v13
	s_add_co_i32 s2, s2, 32
	v_cmp_ge_i32_e64 s1, s10, v2
	s_mul_i32 s2, s15, s2
	v_subrev_nc_u32_e32 v10, s10, v11
	v_add3_u32 v11, 0, s2, v4
	v_dual_mov_b32 v14, v9 :: v_dual_add_nc_u32 v13, -4, v8
	s_mov_b32 s39, s21
	s_sub_co_i32 s40, s40, s10
	s_branch .LBB0_13
.LBB0_12:                               ;   in Loop: Header=BB0_13 Depth=1
	s_and_b32 vcc_lo, exec_lo, s2
	s_cbranch_vccnz .LBB0_65
.LBB0_13:                               ; =>This Loop Header: Depth=1
                                        ;     Child Loop BB0_19 Depth 2
                                        ;       Child Loop BB0_25 Depth 3
                                        ;         Child Loop BB0_29 Depth 4
                                        ;         Child Loop BB0_33 Depth 4
                                        ;       Child Loop BB0_40 Depth 3
                                        ;       Child Loop BB0_45 Depth 3
	;; [unrolled: 1-line block ×4, first 2 shown]
	s_add_co_i32 s2, s26, s22
	s_delay_alu instid0(SALU_CYCLE_1)
	s_cmp_ge_u32 s2, s9
	s_mov_b32 s2, -1
	s_cbranch_scc1 .LBB0_12
; %bb.14:                               ;   in Loop: Header=BB0_13 Depth=1
	s_and_saveexec_b32 s41, s1
	s_cbranch_execz .LBB0_63
; %bb.15:                               ;   in Loop: Header=BB0_13 Depth=1
	v_dual_mov_b32 v16, v10 :: v_dual_add_nc_u32 v15, s27, v9
	v_dual_mov_b32 v17, v14 :: v_dual_mov_b32 v18, v2
	s_lshl_b32 s2, s26, 8
	s_mov_b32 s43, 0
	s_and_b32 s42, s2, 0xff00
	s_mov_b32 s44, 0
	s_branch .LBB0_19
.LBB0_16:                               ;   in Loop: Header=BB0_19 Depth=2
	s_or_b32 exec_lo, exec_lo, s46
.LBB0_17:                               ;   in Loop: Header=BB0_19 Depth=2
	s_delay_alu instid0(SALU_CYCLE_1)
	s_or_b32 exec_lo, exec_lo, s2
	v_lshl_add_u32 v21, v23, 2, v8
	v_add_nc_u16 v20, v20, 1
	ds_store_b32 v21, v19
	ds_store_b8 v1, v20
.LBB0_18:                               ;   in Loop: Header=BB0_19 Depth=2
	s_or_b32 exec_lo, exec_lo, s45
	v_dual_add_nc_u32 v18, s15, v18 :: v_dual_add_nc_u32 v17, s15, v17
	v_add_nc_u32_e32 v16, s15, v16
	s_add_co_i32 s44, s44, 1
	s_delay_alu instid0(VALU_DEP_2) | instskip(SKIP_1) | instid1(SALU_CYCLE_1)
	v_cmp_lt_i32_e32 vcc_lo, s10, v18
	s_or_b32 s43, vcc_lo, s43
	s_and_not1_b32 exec_lo, exec_lo, s43
	s_cbranch_execz .LBB0_63
.LBB0_19:                               ;   Parent Loop BB0_13 Depth=1
                                        ; =>  This Loop Header: Depth=2
                                        ;       Child Loop BB0_25 Depth 3
                                        ;         Child Loop BB0_29 Depth 4
                                        ;         Child Loop BB0_33 Depth 4
                                        ;       Child Loop BB0_40 Depth 3
                                        ;       Child Loop BB0_45 Depth 3
	;; [unrolled: 1-line block ×4, first 2 shown]
	v_or_b32_e32 v19, s26, v18
	s_mov_b32 s45, exec_lo
	s_delay_alu instid0(VALU_DEP_1)
	v_cmpx_ne_u32_e32 0, v19
	s_cbranch_execz .LBB0_18
; %bb.20:                               ;   in Loop: Header=BB0_19 Depth=2
	v_add_nc_u32_e32 v19, s12, v18
	s_and_saveexec_b32 s46, s29
	s_cbranch_execz .LBB0_36
; %bb.21:                               ;   in Loop: Header=BB0_19 Depth=2
	v_mad_u32 v20, s15, s44, v15
	v_dual_mov_b32 v21, 0 :: v_dual_mov_b32 v22, v11
	v_dual_mov_b32 v23, v16 :: v_dual_mov_b32 v24, v17
	v_mov_b32_e32 v25, v4
	s_mov_b32 s47, 0
                                        ; implicit-def: $sgpr48
	s_branch .LBB0_25
.LBB0_22:                               ;   in Loop: Header=BB0_25 Depth=3
	s_or_b32 exec_lo, exec_lo, s2
.LBB0_23:                               ;   in Loop: Header=BB0_25 Depth=3
	v_lshl_add_u32 v27, v25, 2, v3
	v_dual_add_nc_u32 v25, 32, v25 :: v_dual_add_nc_u32 v24, 32, v24
	v_dual_add_nc_u32 v21, 1, v21 :: v_dual_add_nc_u32 v22, 32, v22
	s_delay_alu instid0(VALU_DEP_2)
	v_dual_add_nc_u32 v23, 32, v23 :: v_dual_add_nc_u32 v28, s12, v25
	v_cmp_le_u32_e32 vcc_lo, s21, v25
	s_and_not1_b32 s48, s48, exec_lo
	ds_store_b32 v27, v26
	v_cmp_le_u32_e64 s2, s17, v28
	s_or_b32 s2, vcc_lo, s2
	s_delay_alu instid0(SALU_CYCLE_1) | instskip(NEXT) | instid1(SALU_CYCLE_1)
	s_and_b32 s2, s2, exec_lo
	s_or_b32 s48, s48, s2
.LBB0_24:                               ;   in Loop: Header=BB0_25 Depth=3
	s_or_b32 exec_lo, exec_lo, s49
	s_delay_alu instid0(SALU_CYCLE_1) | instskip(NEXT) | instid1(SALU_CYCLE_1)
	s_and_b32 s2, exec_lo, s48
	s_or_b32 s47, s2, s47
	s_delay_alu instid0(SALU_CYCLE_1)
	s_and_not1_b32 exec_lo, exec_lo, s47
	s_cbranch_execz .LBB0_36
.LBB0_25:                               ;   Parent Loop BB0_13 Depth=1
                                        ;     Parent Loop BB0_19 Depth=2
                                        ; =>    This Loop Header: Depth=3
                                        ;         Child Loop BB0_29 Depth 4
                                        ;         Child Loop BB0_33 Depth 4
	s_delay_alu instid0(VALU_DEP_1) | instskip(SKIP_2) | instid1(VALU_DEP_1)
	v_add_nc_u32_e32 v26, v25, v19
	s_or_b32 s48, s48, exec_lo
	s_mov_b32 s49, exec_lo
	v_cmpx_gt_u32_e64 s17, v26
	s_cbranch_execz .LBB0_24
; %bb.26:                               ;   in Loop: Header=BB0_25 Depth=3
	s_and_not1_b32 vcc_lo, exec_lo, s30
	s_cbranch_vccnz .LBB0_35
; %bb.27:                               ;   in Loop: Header=BB0_25 Depth=3
	v_lshl_add_u32 v26, v21, 5, v20
	s_mov_b32 s50, -1
	v_mov_b32_e32 v29, 0
	s_delay_alu instid0(VALU_DEP_2) | instskip(SKIP_2) | instid1(SALU_CYCLE_1)
	v_cmp_lt_u32_e32 vcc_lo, s37, v26
	v_mov_b32_e32 v26, 0
	s_or_b32 s2, s35, vcc_lo
	s_nor_b32 s51, s33, s2
	s_delay_alu instid0(SALU_CYCLE_1)
	s_and_saveexec_b32 s2, s51
	s_cbranch_execz .LBB0_31
; %bb.28:                               ;   in Loop: Header=BB0_25 Depth=3
	v_dual_mov_b32 v27, 0 :: v_dual_add_nc_u32 v26, s24, v25
	v_dual_mov_b32 v28, 0 :: v_dual_mov_b32 v29, v24
	s_mov_b32 s50, 1
	s_mov_b32 s51, 0
	;; [unrolled: 1-line block ×3, first 2 shown]
.LBB0_29:                               ;   Parent Loop BB0_13 Depth=1
                                        ;     Parent Loop BB0_19 Depth=2
                                        ;       Parent Loop BB0_25 Depth=3
                                        ; =>      This Inner Loop Header: Depth=4
	global_load_u16 v30, v29, s[18:19]
	v_mad_u32 v31, s51, s21, v26
	v_mad_u32 v32, s50, s39, v26
	s_wait_xcnt 0x0
	v_add_nc_u32_e32 v29, 2, v29
	s_add_co_i32 s52, s52, -2
	s_add_co_i32 s51, s51, 2
	s_add_co_i32 s50, s50, 2
	s_cmp_lg_u32 s52, 0
	ds_load_u8 v31, v31
	ds_load_u8 v32, v32
	s_wait_loadcnt 0x0
	v_lshrrev_b16 v33, 8, v30
	v_and_b32_e32 v30, 0xff, v30
	s_delay_alu instid0(VALU_DEP_2) | instskip(SKIP_1) | instid1(VALU_DEP_1)
	v_and_b32_e32 v33, 0xffff, v33
	s_wait_dscnt 0x0
	v_dual_sub_nc_u32 v30, v31, v30 :: v_dual_sub_nc_u32 v31, v32, v33
	s_delay_alu instid0(VALU_DEP_1) | instskip(NEXT) | instid1(VALU_DEP_2)
	v_mad_i32_i24 v27, v30, v30, v27
	v_mad_i32_i24 v28, v31, v31, v28
	s_cbranch_scc1 .LBB0_29
; %bb.30:                               ;   in Loop: Header=BB0_25 Depth=3
	s_delay_alu instid0(VALU_DEP_1)
	v_dual_mov_b32 v29, s36 :: v_dual_add_nc_u32 v26, v27, v28
	s_or_not1_b32 s50, s38, exec_lo
.LBB0_31:                               ;   in Loop: Header=BB0_25 Depth=3
	s_or_b32 exec_lo, exec_lo, s2
	s_and_saveexec_b32 s2, s50
	s_cbranch_execz .LBB0_22
; %bb.32:                               ;   in Loop: Header=BB0_25 Depth=3
	v_add_nc_u32_e32 v27, s40, v29
	v_mad_u32 v28, s21, v29, v22
	v_sub_nc_u32_e32 v29, s11, v29
	s_mov_b32 s50, 0
	s_delay_alu instid0(VALU_DEP_3)
	v_mad_u32 v27, s17, v27, v23
.LBB0_33:                               ;   Parent Loop BB0_13 Depth=1
                                        ;     Parent Loop BB0_19 Depth=2
                                        ;       Parent Loop BB0_25 Depth=3
                                        ; =>      This Inner Loop Header: Depth=4
	global_load_u8 v30, v27, s[18:19]
	ds_load_u8 v31, v28
	s_wait_xcnt 0x0
	v_dual_add_nc_u32 v29, -1, v29 :: v_dual_add_nc_u32 v27, s17, v27
	s_wait_loadcnt_dscnt 0x0
	v_dual_add_nc_u32 v28, s21, v28 :: v_dual_sub_nc_u32 v30, v31, v30
	s_delay_alu instid0(VALU_DEP_2) | instskip(NEXT) | instid1(VALU_DEP_2)
	v_cmp_eq_u32_e32 vcc_lo, 0, v29
	v_mad_i32_i24 v26, v30, v30, v26
	s_or_b32 s50, vcc_lo, s50
	s_delay_alu instid0(SALU_CYCLE_1)
	s_and_not1_b32 exec_lo, exec_lo, s50
	s_cbranch_execnz .LBB0_33
; %bb.34:                               ;   in Loop: Header=BB0_25 Depth=3
	s_or_b32 exec_lo, exec_lo, s50
	s_branch .LBB0_22
.LBB0_35:                               ;   in Loop: Header=BB0_25 Depth=3
	v_mov_b32_e32 v26, 0
	s_branch .LBB0_23
.LBB0_36:                               ;   in Loop: Header=BB0_19 Depth=2
	s_or_b32 exec_lo, exec_lo, s46
	s_delay_alu instid0(VALU_DEP_1) | instskip(NEXT) | instid1(VALU_DEP_1)
	v_add_nc_u32_e32 v19, v19, v6
	v_cmp_gt_u32_e32 vcc_lo, s8, v19
	s_and_b32 s2, s0, vcc_lo
	s_delay_alu instid0(SALU_CYCLE_1)
	s_and_b32 exec_lo, exec_lo, s2
	s_cbranch_execz .LBB0_18
; %bb.37:                               ;   in Loop: Header=BB0_19 Depth=2
	s_and_not1_b32 vcc_lo, exec_lo, s30
	s_cbranch_vccnz .LBB0_42
; %bb.38:                               ;   in Loop: Header=BB0_19 Depth=2
	s_and_not1_b32 vcc_lo, exec_lo, s34
	s_cbranch_vccnz .LBB0_43
; %bb.39:                               ;   in Loop: Header=BB0_19 Depth=2
	v_dual_mov_b32 v20, 0 :: v_dual_mov_b32 v21, v7
	v_mov_b32_e32 v22, 0
	s_mov_b32 s2, s36
.LBB0_40:                               ;   Parent Loop BB0_13 Depth=1
                                        ;     Parent Loop BB0_19 Depth=2
                                        ; =>    This Inner Loop Header: Depth=3
	ds_load_2addr_b32 v[24:25], v21 offset1:1
	v_add_nc_u32_e32 v21, 8, v21
	s_add_co_i32 s2, s2, -2
	s_delay_alu instid0(SALU_CYCLE_1)
	s_cmp_lg_u32 s2, 0
	s_wait_dscnt 0x0
	v_dual_add_nc_u32 v22, v25, v22 :: v_dual_add_nc_u32 v20, v24, v20
	s_cbranch_scc1 .LBB0_40
; %bb.41:                               ;   in Loop: Header=BB0_19 Depth=2
	s_delay_alu instid0(VALU_DEP_1) | instskip(SKIP_2) | instid1(SALU_CYCLE_1)
	v_add_nc_u32_e32 v21, v20, v22
	s_mov_b32 s2, s36
	s_mov_b32 s46, s38
	s_and_b32 vcc_lo, exec_lo, s46
	s_cbranch_vccnz .LBB0_44
	s_branch .LBB0_46
.LBB0_42:                               ;   in Loop: Header=BB0_19 Depth=2
	v_mov_b32_e32 v21, 0
	s_branch .LBB0_46
.LBB0_43:                               ;   in Loop: Header=BB0_19 Depth=2
	v_mov_b32_e32 v21, 0
	s_mov_b32 s2, 0
	s_cbranch_execz .LBB0_46
.LBB0_44:                               ;   in Loop: Header=BB0_19 Depth=2
	v_lshl_add_u32 v20, s2, 2, v12
	s_sub_co_i32 s2, s11, s2
.LBB0_45:                               ;   Parent Loop BB0_13 Depth=1
                                        ;     Parent Loop BB0_19 Depth=2
                                        ; =>    This Inner Loop Header: Depth=3
	ds_load_b32 v22, v20
	v_add_nc_u32_e32 v20, 4, v20
	s_add_co_i32 s2, s2, -1
	s_delay_alu instid0(SALU_CYCLE_1)
	s_cmp_eq_u32 s2, 0
	s_wait_dscnt 0x0
	v_add_nc_u32_e32 v21, v22, v21
	s_cbranch_scc0 .LBB0_45
.LBB0_46:                               ;   in Loop: Header=BB0_19 Depth=2
	s_delay_alu instid0(VALU_DEP_1)
	v_cmp_gt_u32_e32 vcc_lo, s16, v21
	s_and_b32 exec_lo, exec_lo, vcc_lo
	s_cbranch_execz .LBB0_18
; %bb.47:                               ;   in Loop: Header=BB0_19 Depth=2
	ds_load_u8 v20, v1
	v_sub_nc_u32_e32 v19, v19, v5
	v_lshrrev_b32_e32 v21, s28, v21
	s_mov_b32 s2, exec_lo
	s_delay_alu instid0(VALU_DEP_2) | instskip(NEXT) | instid1(VALU_DEP_2)
	v_and_b32_e32 v19, 0xff, v19
	v_lshlrev_b32_e32 v22, 16, v21
	s_delay_alu instid0(VALU_DEP_1) | instskip(SKIP_2) | instid1(VALU_DEP_1)
	v_or3_b32 v19, v22, s42, v19
	s_wait_dscnt 0x0
	v_and_b32_e32 v21, 0xff, v20
	v_cmpx_le_u32_e64 s3, v21
	s_xor_b32 s2, exec_lo, s2
	s_cbranch_execz .LBB0_57
; %bb.48:                               ;   in Loop: Header=BB0_19 Depth=2
	ds_load_b32 v20, v8
	s_mov_b32 s46, exec_lo
	s_wait_dscnt 0x0
	v_cmpx_lt_u32_e64 v19, v20
	s_cbranch_execz .LBB0_56
; %bb.49:                               ;   in Loop: Header=BB0_19 Depth=2
	v_mov_b32_e32 v21, 1
	s_and_not1_b32 vcc_lo, exec_lo, s31
	s_mov_b32 s47, 1
	s_cbranch_vccnz .LBB0_55
; %bb.50:                               ;   in Loop: Header=BB0_19 Depth=2
	v_mov_b32_e32 v20, v8
	s_mov_b32 s48, 0
                                        ; implicit-def: $sgpr49
	s_branch .LBB0_52
.LBB0_51:                               ;   in Loop: Header=BB0_52 Depth=3
	s_or_b32 exec_lo, exec_lo, s50
	v_add_nc_u32_e32 v20, 4, v20
	s_and_b32 s50, exec_lo, s49
	s_delay_alu instid0(SALU_CYCLE_1) | instskip(NEXT) | instid1(SALU_CYCLE_1)
	s_or_b32 s48, s50, s48
	s_and_not1_b32 exec_lo, exec_lo, s48
	s_cbranch_execz .LBB0_54
.LBB0_52:                               ;   Parent Loop BB0_13 Depth=1
                                        ;     Parent Loop BB0_19 Depth=2
                                        ; =>    This Inner Loop Header: Depth=3
	ds_load_b32 v22, v20 offset:4
	v_mov_b32_e32 v21, s47
	s_or_b32 s49, s49, exec_lo
	s_mov_b32 s50, exec_lo
	s_wait_dscnt 0x0
	v_cmpx_lt_u32_e64 v19, v22
	s_cbranch_execz .LBB0_51
; %bb.53:                               ;   in Loop: Header=BB0_52 Depth=3
	s_add_co_i32 s47, s47, 1
	v_mov_b32_e32 v21, s3
	s_cmp_eq_u32 s3, s47
	ds_store_b32 v20, v22
	s_cselect_b32 s51, -1, 0
	s_and_not1_b32 s49, s49, exec_lo
	s_and_b32 s51, s51, exec_lo
	s_delay_alu instid0(SALU_CYCLE_1)
	s_or_b32 s49, s49, s51
	s_branch .LBB0_51
.LBB0_54:                               ;   in Loop: Header=BB0_19 Depth=2
	s_or_b32 exec_lo, exec_lo, s48
.LBB0_55:                               ;   in Loop: Header=BB0_19 Depth=2
	s_delay_alu instid0(VALU_DEP_1) | instskip(NEXT) | instid1(VALU_DEP_1)
	v_lshlrev_b32_e32 v20, 2, v21
	v_add3_u32 v20, v8, v20, -4
	ds_store_b32 v20, v19
.LBB0_56:                               ;   in Loop: Header=BB0_19 Depth=2
	s_or_b32 exec_lo, exec_lo, s46
                                        ; implicit-def: $vgpr20
                                        ; implicit-def: $vgpr19
                                        ; implicit-def: $vgpr21
.LBB0_57:                               ;   in Loop: Header=BB0_19 Depth=2
	s_and_not1_saveexec_b32 s2, s2
	s_cbranch_execz .LBB0_18
; %bb.58:                               ;   in Loop: Header=BB0_19 Depth=2
	v_and_b32_e32 v22, 0xff, v20
	v_mov_b32_e32 v23, 0
	s_mov_b32 s2, exec_lo
	s_delay_alu instid0(VALU_DEP_2)
	v_cmpx_ne_u16_e32 0, v22
	s_cbranch_execz .LBB0_17
; %bb.59:                               ;   in Loop: Header=BB0_19 Depth=2
	v_lshl_add_u32 v22, v21, 2, v13
	s_mov_b32 s46, 0
                                        ; implicit-def: $sgpr47
	s_branch .LBB0_61
.LBB0_60:                               ;   in Loop: Header=BB0_61 Depth=3
	s_or_b32 exec_lo, exec_lo, s48
	v_dual_mov_b32 v23, v21 :: v_dual_mov_b32 v21, v24
	s_and_b32 s48, exec_lo, s47
	s_delay_alu instid0(SALU_CYCLE_1) | instskip(NEXT) | instid1(SALU_CYCLE_1)
	s_or_b32 s46, s48, s46
	s_and_not1_b32 exec_lo, exec_lo, s46
	s_cbranch_execz .LBB0_16
.LBB0_61:                               ;   Parent Loop BB0_13 Depth=1
                                        ;     Parent Loop BB0_19 Depth=2
                                        ; =>    This Inner Loop Header: Depth=3
	ds_load_b32 v23, v22
	s_or_b32 s47, s47, exec_lo
	s_mov_b32 s48, exec_lo
                                        ; implicit-def: $vgpr24
	s_wait_dscnt 0x0
	v_cmpx_gt_u32_e64 v19, v23
	s_cbranch_execz .LBB0_60
; %bb.62:                               ;   in Loop: Header=BB0_61 Depth=3
	v_cmp_gt_i32_e32 vcc_lo, 2, v21
	ds_store_b32 v22, v23 offset:4
	v_dual_add_nc_u32 v24, -1, v21 :: v_dual_add_nc_u32 v22, -4, v22
	v_mov_b32_e32 v21, 0
	s_and_not1_b32 s47, s47, exec_lo
	s_and_b32 s49, vcc_lo, exec_lo
	s_delay_alu instid0(SALU_CYCLE_1)
	s_or_b32 s47, s47, s49
	s_branch .LBB0_60
.LBB0_63:                               ;   in Loop: Header=BB0_13 Depth=1
	s_or_b32 exec_lo, exec_lo, s41
; %bb.64:                               ;   in Loop: Header=BB0_13 Depth=1
	s_add_co_i32 s41, s26, 1
	s_add_co_i32 s27, s27, 1
	v_add_nc_u32_e32 v14, 1, v14
	s_add_co_i32 s40, s40, 1
	s_cmp_ge_i32 s26, s10
	s_mov_b32 s26, s41
	s_cselect_b32 s2, -1, 0
	s_branch .LBB0_12
.LBB0_65:
	v_cmp_gt_u32_e32 vcc_lo, 32, v0
	v_cmp_gt_u32_e64 s0, s8, v5
	s_wait_dscnt 0x0
	s_barrier_signal -1
	s_barrier_wait -1
	s_and_b32 s0, vcc_lo, s0
	s_delay_alu instid0(SALU_CYCLE_1)
	s_and_saveexec_b32 s1, s0
	s_cbranch_execz .LBB0_81
; %bb.66:
	v_or_b32_e32 v2, s23, v4
	s_lshl_b32 s1, s14, 5
	s_cmp_lg_u32 s3, 0
	s_mov_b32 s0, 0
	s_delay_alu instid0(VALU_DEP_1)
	v_mad_u32 v0, s1, s20, v2
	s_cbranch_scc0 .LBB0_82
; %bb.67:
	v_mad_u32 v2, s1, s20, v2
	v_mul_lo_u32 v4, s3, v4
	s_cmp_gt_u32 s13, 31
	s_mov_b32 s8, 0
	s_cselect_b32 s1, -1, 0
	s_lshl_b32 s2, s25, 2
	s_delay_alu instid0(SALU_CYCLE_1) | instskip(NEXT) | instid1(VALU_DEP_2)
	s_add_co_i32 s2, s2, 0
	v_mul_lo_u32 v3, v2, s3
	s_delay_alu instid0(VALU_DEP_2) | instskip(NEXT) | instid1(VALU_DEP_1)
	v_lshlrev_b32_e32 v4, 2, v4
	v_add3_u32 v4, s2, v4, -4
	s_lshl_b32 s2, s3, 7
	s_branch .LBB0_69
.LBB0_68:                               ;   in Loop: Header=BB0_69 Depth=1
	s_wait_xcnt 0x0
	s_or_b32 exec_lo, exec_lo, s9
	s_delay_alu instid0(SALU_CYCLE_1) | instskip(NEXT) | instid1(SALU_CYCLE_1)
	s_and_b32 s9, exec_lo, s10
	s_or_b32 s0, s9, s0
	s_delay_alu instid0(SALU_CYCLE_1)
	s_and_not1_b32 exec_lo, exec_lo, s0
	s_cbranch_execz .LBB0_78
.LBB0_69:                               ; =>This Loop Header: Depth=1
                                        ;     Child Loop BB0_72 Depth 2
	s_and_not1_b32 vcc_lo, exec_lo, s1
	s_cbranch_vccnz .LBB0_74
; %bb.70:                               ;   in Loop: Header=BB0_69 Depth=1
	v_dual_mov_b32 v5, -1 :: v_dual_mov_b32 v6, 0
	v_dual_mov_b32 v7, v4 :: v_dual_mov_b32 v8, v1
	s_mov_b32 s9, 0
	s_branch .LBB0_72
.LBB0_71:                               ;   in Loop: Header=BB0_72 Depth=2
	s_or_b32 exec_lo, exec_lo, s10
	v_dual_add_nc_u32 v8, 32, v8 :: v_dual_add_nc_u32 v7, s2, v7
	s_add_co_i32 s9, s9, 1
	s_delay_alu instid0(SALU_CYCLE_1)
	s_cmp_eq_u32 s15, s9
	s_cbranch_scc1 .LBB0_75
.LBB0_72:                               ;   Parent Loop BB0_69 Depth=1
                                        ; =>  This Inner Loop Header: Depth=2
	ds_load_u8 v9, v8
	s_mov_b32 s10, exec_lo
	s_wait_dscnt 0x0
	v_cmpx_ne_u16_e32 0, v9
	s_cbranch_execz .LBB0_71
; %bb.73:                               ;   in Loop: Header=BB0_72 Depth=2
	v_and_b32_e32 v9, 0xffff, v9
	s_delay_alu instid0(VALU_DEP_1)
	v_lshl_add_u32 v9, v9, 2, v7
	ds_load_b32 v9, v9
	s_wait_dscnt 0x0
	v_cmp_lt_u32_e32 vcc_lo, v9, v5
	v_min_u32_e32 v5, v9, v5
	v_cndmask_b32_e64 v6, v6, s9, vcc_lo
	s_branch .LBB0_71
.LBB0_74:                               ;   in Loop: Header=BB0_69 Depth=1
	v_dual_mov_b32 v7, 0 :: v_dual_mov_b32 v5, -1
	s_branch .LBB0_76
.LBB0_75:                               ;   in Loop: Header=BB0_69 Depth=1
	v_lshlrev_b32_e32 v7, 5, v6
.LBB0_76:                               ;   in Loop: Header=BB0_69 Depth=1
	v_mov_b32_e32 v6, s8
	s_mov_b32 s10, -1
	s_mov_b32 s9, exec_lo
	v_cmpx_ne_u32_e32 -1, v5
	s_cbranch_execz .LBB0_68
; %bb.77:                               ;   in Loop: Header=BB0_69 Depth=1
	v_add_nc_u32_e32 v7, v1, v7
	v_add_nc_u32_e32 v8, s8, v3
	s_add_co_i32 s8, s8, 1
	s_delay_alu instid0(SALU_CYCLE_1)
	s_cmp_eq_u32 s8, s3
	ds_load_u8 v6, v7
	s_cselect_b32 s10, -1, 0
	s_wait_kmcnt 0x0
	global_store_b16 v8, v5, s[4:5] scale_offset
	s_or_not1_b32 s10, s10, exec_lo
	s_wait_dscnt 0x0
	v_add_nc_u16 v9, v6, -1
	v_mov_b32_e32 v6, s3
	ds_store_b8 v7, v9
	s_branch .LBB0_68
.LBB0_78:
	s_or_b32 exec_lo, exec_lo, s0
	v_add_nc_u32_e32 v1, 1, v6
	s_delay_alu instid0(VALU_DEP_1)
	v_clz_i32_u32_e32 v1, v1
	s_branch .LBB0_80
.LBB0_79:
	s_delay_alu instid0(VALU_DEP_1)
	v_dual_mov_b32 v1, 31 :: v_dual_mov_b32 v2, v0
.LBB0_80:
	s_delay_alu instid0(VALU_DEP_1) | instskip(NEXT) | instid1(VALU_DEP_1)
	v_lshrrev_b32_e64 v0, v1, 0x80000000
	v_add_nc_u32_e32 v0, -1, v0
	s_wait_kmcnt 0x0
	global_store_b32 v2, v0, s[6:7] scale_offset
.LBB0_81:
	s_endpgm
.LBB0_82:
                                        ; implicit-def: $vgpr1
                                        ; implicit-def: $vgpr2
	s_cbranch_execnz .LBB0_79
	s_branch .LBB0_80
	.section	.rodata,"a",@progbits
	.p2align	6, 0x0
	.amdhsa_kernel _Z14block_matchingPKhPtPj15HIP_vector_typeIjLj2EES4_6ParamsS4_
		.amdhsa_group_segment_fixed_size 0
		.amdhsa_private_segment_fixed_size 0
		.amdhsa_kernarg_size 336
		.amdhsa_user_sgpr_count 2
		.amdhsa_user_sgpr_dispatch_ptr 0
		.amdhsa_user_sgpr_queue_ptr 0
		.amdhsa_user_sgpr_kernarg_segment_ptr 1
		.amdhsa_user_sgpr_dispatch_id 0
		.amdhsa_user_sgpr_kernarg_preload_length 0
		.amdhsa_user_sgpr_kernarg_preload_offset 0
		.amdhsa_user_sgpr_private_segment_size 0
		.amdhsa_wavefront_size32 1
		.amdhsa_uses_dynamic_stack 0
		.amdhsa_enable_private_segment 0
		.amdhsa_system_sgpr_workgroup_id_x 1
		.amdhsa_system_sgpr_workgroup_id_y 1
		.amdhsa_system_sgpr_workgroup_id_z 0
		.amdhsa_system_sgpr_workgroup_info 0
		.amdhsa_system_vgpr_workitem_id 0
		.amdhsa_next_free_vgpr 34
		.amdhsa_next_free_sgpr 53
		.amdhsa_named_barrier_count 0
		.amdhsa_reserve_vcc 1
		.amdhsa_float_round_mode_32 0
		.amdhsa_float_round_mode_16_64 0
		.amdhsa_float_denorm_mode_32 3
		.amdhsa_float_denorm_mode_16_64 3
		.amdhsa_fp16_overflow 0
		.amdhsa_memory_ordered 1
		.amdhsa_forward_progress 1
		.amdhsa_inst_pref_size 24
		.amdhsa_round_robin_scheduling 0
		.amdhsa_exception_fp_ieee_invalid_op 0
		.amdhsa_exception_fp_denorm_src 0
		.amdhsa_exception_fp_ieee_div_zero 0
		.amdhsa_exception_fp_ieee_overflow 0
		.amdhsa_exception_fp_ieee_underflow 0
		.amdhsa_exception_fp_ieee_inexact 0
		.amdhsa_exception_int_div_zero 0
	.end_amdhsa_kernel
	.text
.Lfunc_end0:
	.size	_Z14block_matchingPKhPtPj15HIP_vector_typeIjLj2EES4_6ParamsS4_, .Lfunc_end0-_Z14block_matchingPKhPtPj15HIP_vector_typeIjLj2EES4_6ParamsS4_
                                        ; -- End function
	.set _Z14block_matchingPKhPtPj15HIP_vector_typeIjLj2EES4_6ParamsS4_.num_vgpr, 34
	.set _Z14block_matchingPKhPtPj15HIP_vector_typeIjLj2EES4_6ParamsS4_.num_agpr, 0
	.set _Z14block_matchingPKhPtPj15HIP_vector_typeIjLj2EES4_6ParamsS4_.numbered_sgpr, 53
	.set _Z14block_matchingPKhPtPj15HIP_vector_typeIjLj2EES4_6ParamsS4_.num_named_barrier, 0
	.set _Z14block_matchingPKhPtPj15HIP_vector_typeIjLj2EES4_6ParamsS4_.private_seg_size, 0
	.set _Z14block_matchingPKhPtPj15HIP_vector_typeIjLj2EES4_6ParamsS4_.uses_vcc, 1
	.set _Z14block_matchingPKhPtPj15HIP_vector_typeIjLj2EES4_6ParamsS4_.uses_flat_scratch, 0
	.set _Z14block_matchingPKhPtPj15HIP_vector_typeIjLj2EES4_6ParamsS4_.has_dyn_sized_stack, 0
	.set _Z14block_matchingPKhPtPj15HIP_vector_typeIjLj2EES4_6ParamsS4_.has_recursion, 0
	.set _Z14block_matchingPKhPtPj15HIP_vector_typeIjLj2EES4_6ParamsS4_.has_indirect_call, 0
	.section	.AMDGPU.csdata,"",@progbits
; Kernel info:
; codeLenInByte = 3016
; TotalNumSgprs: 55
; NumVgprs: 34
; ScratchSize: 0
; MemoryBound: 0
; FloatMode: 240
; IeeeMode: 1
; LDSByteSize: 0 bytes/workgroup (compile time only)
; SGPRBlocks: 0
; VGPRBlocks: 2
; NumSGPRsForWavesPerEU: 55
; NumVGPRsForWavesPerEU: 34
; NamedBarCnt: 0
; Occupancy: 16
; WaveLimiterHint : 0
; COMPUTE_PGM_RSRC2:SCRATCH_EN: 0
; COMPUTE_PGM_RSRC2:USER_SGPR: 2
; COMPUTE_PGM_RSRC2:TRAP_HANDLER: 0
; COMPUTE_PGM_RSRC2:TGID_X_EN: 1
; COMPUTE_PGM_RSRC2:TGID_Y_EN: 1
; COMPUTE_PGM_RSRC2:TGID_Z_EN: 0
; COMPUTE_PGM_RSRC2:TIDIG_COMP_CNT: 0
	.text
	.p2alignl 7, 3214868480
	.fill 96, 4, 3214868480
	.section	.AMDGPU.gpr_maximums,"",@progbits
	.set amdgpu.max_num_vgpr, 0
	.set amdgpu.max_num_agpr, 0
	.set amdgpu.max_num_sgpr, 0
	.text
	.type	__hip_cuid_5092784009097c2a,@object ; @__hip_cuid_5092784009097c2a
	.section	.bss,"aw",@nobits
	.globl	__hip_cuid_5092784009097c2a
__hip_cuid_5092784009097c2a:
	.byte	0                               ; 0x0
	.size	__hip_cuid_5092784009097c2a, 1

	.ident	"AMD clang version 22.0.0git (https://github.com/RadeonOpenCompute/llvm-project roc-7.2.4 26084 f58b06dce1f9c15707c5f808fd002e18c2accf7e)"
	.section	".note.GNU-stack","",@progbits
	.addrsig
	.addrsig_sym __hip_cuid_5092784009097c2a
	.amdgpu_metadata
---
amdhsa.kernels:
  - .args:
      - .actual_access:  read_only
        .address_space:  global
        .offset:         0
        .size:           8
        .value_kind:     global_buffer
      - .actual_access:  write_only
        .address_space:  global
        .offset:         8
        .size:           8
        .value_kind:     global_buffer
      - .actual_access:  write_only
        .address_space:  global
        .offset:         16
        .size:           8
        .value_kind:     global_buffer
      - .offset:         24
        .size:           8
        .value_kind:     by_value
      - .offset:         32
        .size:           8
        .value_kind:     by_value
      - .offset:         40
        .size:           28
        .value_kind:     by_value
      - .offset:         72
        .size:           8
        .value_kind:     by_value
      - .offset:         80
        .size:           4
        .value_kind:     hidden_block_count_x
      - .offset:         84
        .size:           4
        .value_kind:     hidden_block_count_y
      - .offset:         88
        .size:           4
        .value_kind:     hidden_block_count_z
      - .offset:         92
        .size:           2
        .value_kind:     hidden_group_size_x
      - .offset:         94
        .size:           2
        .value_kind:     hidden_group_size_y
      - .offset:         96
        .size:           2
        .value_kind:     hidden_group_size_z
      - .offset:         98
        .size:           2
        .value_kind:     hidden_remainder_x
      - .offset:         100
        .size:           2
        .value_kind:     hidden_remainder_y
      - .offset:         102
        .size:           2
        .value_kind:     hidden_remainder_z
      - .offset:         120
        .size:           8
        .value_kind:     hidden_global_offset_x
      - .offset:         128
        .size:           8
        .value_kind:     hidden_global_offset_y
      - .offset:         136
        .size:           8
        .value_kind:     hidden_global_offset_z
      - .offset:         144
        .size:           2
        .value_kind:     hidden_grid_dims
      - .offset:         200
        .size:           4
        .value_kind:     hidden_dynamic_lds_size
    .group_segment_fixed_size: 0
    .kernarg_segment_align: 8
    .kernarg_segment_size: 336
    .language:       OpenCL C
    .language_version:
      - 2
      - 0
    .max_flat_workgroup_size: 1024
    .name:           _Z14block_matchingPKhPtPj15HIP_vector_typeIjLj2EES4_6ParamsS4_
    .private_segment_fixed_size: 0
    .sgpr_count:     55
    .sgpr_spill_count: 0
    .symbol:         _Z14block_matchingPKhPtPj15HIP_vector_typeIjLj2EES4_6ParamsS4_.kd
    .uniform_work_group_size: 1
    .uses_dynamic_stack: false
    .vgpr_count:     34
    .vgpr_spill_count: 0
    .wavefront_size: 32
amdhsa.target:   amdgcn-amd-amdhsa--gfx1250
amdhsa.version:
  - 1
  - 2
...

	.end_amdgpu_metadata
